;; amdgpu-corpus repo=ROCm/rocFFT kind=compiled arch=gfx1030 opt=O3
	.text
	.amdgcn_target "amdgcn-amd-amdhsa--gfx1030"
	.amdhsa_code_object_version 6
	.protected	bluestein_single_back_len980_dim1_sp_op_CI_CI ; -- Begin function bluestein_single_back_len980_dim1_sp_op_CI_CI
	.globl	bluestein_single_back_len980_dim1_sp_op_CI_CI
	.p2align	8
	.type	bluestein_single_back_len980_dim1_sp_op_CI_CI,@function
bluestein_single_back_len980_dim1_sp_op_CI_CI: ; @bluestein_single_back_len980_dim1_sp_op_CI_CI
; %bb.0:
	s_load_dwordx4 s[0:3], s[4:5], 0x28
	v_mul_u32_u24_e32 v1, 0x14f, v0
	v_mov_b32_e32 v45, 0
	v_lshrrev_b32_e32 v1, 16, v1
	v_add_nc_u32_e32 v44, s6, v1
	s_waitcnt lgkmcnt(0)
	v_cmp_gt_u64_e32 vcc_lo, s[0:1], v[44:45]
	s_and_saveexec_b32 s0, vcc_lo
	s_cbranch_execz .LBB0_31
; %bb.1:
	s_clause 0x1
	s_load_dwordx2 s[14:15], s[4:5], 0x0
	s_load_dwordx2 s[12:13], s[4:5], 0x38
	v_mul_lo_u16 v1, 0xc4, v1
	v_sub_nc_u16 v0, v0, v1
	v_and_b32_e32 v49, 0xffff, v0
	v_cmp_gt_u16_e32 vcc_lo, 0x8c, v0
	v_lshlrev_b32_e32 v50, 3, v49
	s_and_saveexec_b32 s1, vcc_lo
	s_cbranch_execz .LBB0_3
; %bb.2:
	s_load_dwordx2 s[6:7], s[4:5], 0x18
	s_waitcnt lgkmcnt(0)
	v_add_co_u32 v14, s0, s14, v50
	v_add_co_ci_u32_e64 v15, null, s15, 0, s0
	v_add_nc_u32_e32 v30, 0x800, v50
	v_add_nc_u32_e32 v31, 0x1000, v50
	s_load_dwordx4 s[8:11], s[6:7], 0x0
	s_clause 0x1
	global_load_dwordx2 v[4:5], v50, s[14:15]
	global_load_dwordx2 v[6:7], v50, s[14:15] offset:1120
	s_waitcnt lgkmcnt(0)
	v_mad_u64_u32 v[0:1], null, s10, v44, 0
	v_mad_u64_u32 v[2:3], null, s8, v49, 0
	s_mul_i32 s6, s9, 0x460
	s_mul_hi_u32 s7, s8, 0x460
	s_add_i32 s7, s7, s6
	v_mad_u64_u32 v[8:9], null, s11, v44, v[1:2]
	v_add_co_u32 v9, s0, 0x800, v14
	v_add_co_ci_u32_e64 v10, s0, 0, v15, s0
	v_mov_b32_e32 v1, v8
	s_clause 0x1
	global_load_dwordx2 v[16:17], v[9:10], off offset:192
	global_load_dwordx2 v[8:9], v[9:10], off offset:1312
	v_lshlrev_b64 v[0:1], 3, v[0:1]
	s_waitcnt vmcnt(3)
	v_mad_u64_u32 v[11:12], null, s9, v49, v[3:4]
	v_add_co_u32 v12, s0, 0x1000, v14
	v_add_co_ci_u32_e64 v13, s0, 0, v15, s0
	v_add_co_u32 v14, s0, 0x1800, v14
	v_mov_b32_e32 v3, v11
	v_add_co_ci_u32_e64 v15, s0, 0, v15, s0
	v_add_co_u32 v0, s0, s2, v0
	v_lshlrev_b64 v[2:3], 3, v[2:3]
	v_add_co_ci_u32_e64 v1, s0, s3, v1, s0
	s_mul_i32 s2, s8, 0x460
	global_load_dwordx2 v[10:11], v[12:13], off offset:384
	v_add_co_u32 v0, s0, v0, v2
	v_add_co_ci_u32_e64 v1, s0, v1, v3, s0
	v_add_co_u32 v2, s0, v0, s2
	v_add_co_ci_u32_e64 v3, s0, s7, v1, s0
	global_load_dwordx2 v[0:1], v[0:1], off
	v_add_co_u32 v18, s0, v2, s2
	v_add_co_ci_u32_e64 v19, s0, s7, v3, s0
	v_add_co_u32 v20, s0, v18, s2
	v_add_co_ci_u32_e64 v21, s0, s7, v19, s0
	s_clause 0x1
	global_load_dwordx2 v[2:3], v[2:3], off
	global_load_dwordx2 v[18:19], v[18:19], off
	v_add_co_u32 v22, s0, v20, s2
	v_add_co_ci_u32_e64 v23, s0, s7, v21, s0
	global_load_dwordx2 v[20:21], v[20:21], off
	v_add_co_u32 v24, s0, v22, s2
	v_add_co_ci_u32_e64 v25, s0, s7, v23, s0
	;; [unrolled: 3-line block ×3, first 2 shown]
	global_load_dwordx2 v[12:13], v[12:13], off offset:1504
	global_load_dwordx2 v[24:25], v[24:25], off
	global_load_dwordx2 v[14:15], v[14:15], off offset:576
	global_load_dwordx2 v[26:27], v[26:27], off
	s_waitcnt vmcnt(8)
	v_mul_f32_e32 v28, v1, v5
	v_mul_f32_e32 v29, v0, v5
	v_fmac_f32_e32 v28, v0, v4
	v_fma_f32 v29, v1, v4, -v29
	s_waitcnt vmcnt(7)
	v_mul_f32_e32 v5, v3, v7
	v_mul_f32_e32 v7, v2, v7
	s_waitcnt vmcnt(6)
	v_mul_f32_e32 v0, v19, v17
	v_mul_f32_e32 v1, v18, v17
	v_fmac_f32_e32 v5, v2, v6
	v_fma_f32 v6, v3, v6, -v7
	s_waitcnt vmcnt(5)
	v_mul_f32_e32 v2, v21, v9
	v_mul_f32_e32 v3, v20, v9
	v_fmac_f32_e32 v0, v18, v16
	v_fma_f32 v1, v19, v16, -v1
	s_waitcnt vmcnt(4)
	v_mul_f32_e32 v7, v23, v11
	v_mul_f32_e32 v4, v22, v11
	v_fmac_f32_e32 v2, v20, v8
	s_waitcnt vmcnt(2)
	v_mul_f32_e32 v9, v25, v13
	v_mul_f32_e32 v13, v24, v13
	s_waitcnt vmcnt(0)
	v_mul_f32_e32 v11, v27, v15
	v_mul_f32_e32 v15, v26, v15
	v_fma_f32 v3, v21, v8, -v3
	v_fmac_f32_e32 v7, v22, v10
	v_fma_f32 v8, v23, v10, -v4
	v_fmac_f32_e32 v9, v24, v12
	;; [unrolled: 2-line block ×3, first 2 shown]
	v_fma_f32 v12, v27, v14, -v15
	ds_write2_b64 v50, v[28:29], v[5:6] offset1:140
	ds_write2_b64 v30, v[0:1], v[2:3] offset0:24 offset1:164
	ds_write2_b64 v31, v[7:8], v[9:10] offset0:48 offset1:188
	ds_write_b64 v50, v[11:12] offset:6720
.LBB0_3:
	s_or_b32 exec_lo, exec_lo, s1
	s_clause 0x1
	s_load_dwordx2 s[0:1], s[4:5], 0x20
	s_load_dwordx2 s[2:3], s[4:5], 0x8
	v_mov_b32_e32 v2, 0
	v_mov_b32_e32 v3, 0
	;; [unrolled: 1-line block ×3, first 2 shown]
	s_waitcnt lgkmcnt(0)
	s_barrier
	buffer_gl0_inv
	v_mov_b32_e32 v5, v3
	v_mov_b32_e32 v9, v3
	;; [unrolled: 1-line block ×5, first 2 shown]
                                        ; implicit-def: $vgpr12
	s_and_saveexec_b32 s4, vcc_lo
	s_cbranch_execz .LBB0_5
; %bb.4:
	v_add_nc_u32_e32 v4, 0x800, v50
	v_add_nc_u32_e32 v8, 0x1000, v50
	ds_read2_b64 v[0:3], v50 offset1:140
	ds_read2_b64 v[4:7], v4 offset0:24 offset1:164
	ds_read2_b64 v[8:11], v8 offset0:48 offset1:188
	ds_read_b64 v[12:13], v50 offset:6720
.LBB0_5:
	s_or_b32 exec_lo, exec_lo, s4
	s_waitcnt lgkmcnt(0)
	v_add_f32_e32 v14, v12, v2
	v_add_f32_e32 v15, v13, v3
	;; [unrolled: 1-line block ×4, first 2 shown]
	v_sub_f32_e32 v12, v2, v12
	v_sub_f32_e32 v13, v3, v13
	;; [unrolled: 1-line block ×4, first 2 shown]
	v_add_f32_e32 v10, v6, v8
	v_add_f32_e32 v11, v7, v9
	v_sub_f32_e32 v6, v8, v6
	v_sub_f32_e32 v7, v9, v7
	v_add_f32_e32 v8, v14, v16
	v_add_f32_e32 v9, v15, v17
	v_sub_f32_e32 v2, v16, v14
	v_sub_f32_e32 v3, v17, v15
	;; [unrolled: 1-line block ×6, first 2 shown]
	v_add_f32_e32 v16, v4, v6
	v_add_f32_e32 v17, v5, v7
	v_sub_f32_e32 v19, v6, v4
	v_sub_f32_e32 v21, v7, v5
	;; [unrolled: 1-line block ×3, first 2 shown]
	v_add_f32_e32 v8, v8, v10
	v_add_f32_e32 v9, v9, v11
	v_sub_f32_e32 v5, v5, v13
	v_sub_f32_e32 v6, v12, v6
	;; [unrolled: 1-line block ×3, first 2 shown]
	v_add_f32_e32 v16, v12, v16
	v_add_f32_e32 v0, v8, v0
	;; [unrolled: 1-line block ×3, first 2 shown]
	v_mul_f32_e32 v10, 0x3f4a47b2, v24
	v_mul_f32_e32 v11, 0x3f4a47b2, v15
	;; [unrolled: 1-line block ×8, first 2 shown]
	v_add_f32_e32 v17, v13, v17
	v_fmamk_f32 v14, v8, 0xbf955555, v0
	v_fmamk_f32 v19, v9, 0xbf955555, v1
	v_fmamk_f32 v8, v24, 0x3f4a47b2, v12
	v_fmamk_f32 v13, v15, 0x3f4a47b2, v20
	v_fma_f32 v10, 0xbf3bfb3b, v2, -v10
	v_fma_f32 v11, 0xbf3bfb3b, v3, -v11
	v_fmamk_f32 v4, v6, 0x3eae86e6, v22
	v_fmamk_f32 v5, v7, 0x3eae86e6, v18
	v_fma_f32 v9, 0xbeae86e6, v6, -v23
	v_fma_f32 v6, 0xbeae86e6, v7, -v21
	v_add_f32_e32 v7, v8, v14
	v_add_f32_e32 v13, v13, v19
	;; [unrolled: 1-line block ×4, first 2 shown]
	v_fmac_f32_e32 v6, 0x3ee1c552, v17
	v_fmac_f32_e32 v9, 0x3ee1c552, v16
	;; [unrolled: 1-line block ×4, first 2 shown]
	v_mul_lo_u16 v53, v49, 7
	v_sub_f32_e32 v10, v8, v6
	v_add_f32_e32 v11, v9, v15
	v_sub_f32_e32 v32, v7, v5
	v_add_f32_e32 v33, v4, v13
	s_barrier
	buffer_gl0_inv
	s_and_saveexec_b32 s4, vcc_lo
	s_cbranch_execz .LBB0_7
; %bb.6:
	v_mul_f32_e32 v3, 0x3f3bfb3b, v3
	v_mul_f32_e32 v2, 0x3f3bfb3b, v2
	v_mul_f32_e32 v16, 0x3ee1c552, v16
	v_sub_f32_e32 v22, v23, v22
	v_mul_f32_e32 v17, 0x3ee1c552, v17
	v_sub_f32_e32 v3, v3, v20
	v_sub_f32_e32 v2, v2, v12
	;; [unrolled: 1-line block ×3, first 2 shown]
	v_add_f32_e32 v12, v22, v16
	v_sub_f32_e32 v13, v13, v4
	v_add_f32_e32 v16, v3, v19
	v_add_f32_e32 v2, v2, v14
	v_mov_b32_e32 v14, 3
	v_add_f32_e32 v18, v18, v17
	v_sub_f32_e32 v9, v15, v9
	v_sub_f32_e32 v3, v16, v12
	v_add_f32_e32 v17, v12, v16
	v_add_f32_e32 v12, v7, v5
	v_lshlrev_b32_sdwa v4, v14, v53 dst_sel:DWORD dst_unused:UNUSED_PAD src0_sel:DWORD src1_sel:WORD_0
	v_sub_f32_e32 v16, v2, v18
	v_add_f32_e32 v8, v8, v6
	v_add_f32_e32 v2, v2, v18
	ds_write2_b64 v4, v[0:1], v[12:13] offset1:1
	ds_write2_b64 v4, v[8:9], v[16:17] offset0:2 offset1:3
	ds_write2_b64 v4, v[2:3], v[10:11] offset0:4 offset1:5
	ds_write_b64 v4, v[32:33] offset:48
.LBB0_7:
	s_or_b32 exec_lo, exec_lo, s4
	v_and_b32_e32 v12, 0xff, v49
	s_load_dwordx4 s[4:7], s[0:1], 0x0
	s_waitcnt lgkmcnt(0)
	s_barrier
	buffer_gl0_inv
	v_mul_lo_u16 v0, v12, 37
	v_add_nc_u32_e32 v8, 0xc00, v50
	v_mov_b32_e32 v23, 35
	v_lshrrev_b16 v0, 8, v0
	v_sub_nc_u16 v1, v49, v0
	v_lshrrev_b16 v1, 1, v1
	v_and_b32_e32 v1, 0x7f, v1
	v_add_nc_u16 v0, v1, v0
	v_lshrrev_b16 v21, 2, v0
	v_mul_lo_u16 v0, v21, 7
	v_mul_u32_u24_sdwa v21, v21, v23 dst_sel:DWORD dst_unused:UNUSED_PAD src0_sel:WORD_0 src1_sel:DWORD
	v_sub_nc_u16 v0, v49, v0
	v_and_b32_e32 v22, 0xff, v0
	v_lshlrev_b32_e32 v0, 5, v22
	v_add_lshl_u32 v54, v21, v22, 3
	s_clause 0x1
	global_load_dwordx4 v[4:7], v0, s[2:3]
	global_load_dwordx4 v[0:3], v0, s[2:3] offset:16
	ds_read2_b64 v[13:16], v50 offset1:196
	ds_read2_b64 v[17:20], v8 offset0:8 offset1:204
	ds_read_b64 v[8:9], v50 offset:6272
	s_waitcnt vmcnt(0) lgkmcnt(0)
	s_barrier
	buffer_gl0_inv
	v_mul_f32_e32 v21, v16, v5
	v_mul_f32_e32 v22, v15, v5
	;; [unrolled: 1-line block ×8, first 2 shown]
	v_fma_f32 v15, v15, v4, -v21
	v_fmac_f32_e32 v22, v16, v4
	v_fma_f32 v16, v17, v6, -v23
	v_fmac_f32_e32 v24, v18, v6
	v_fma_f32 v17, v19, v0, -v25
	v_fmac_f32_e32 v34, v9, v2
	v_fmac_f32_e32 v27, v20, v0
	v_fma_f32 v18, v8, v2, -v26
	v_add_f32_e32 v8, v13, v15
	v_add_f32_e32 v9, v16, v17
	v_sub_f32_e32 v21, v15, v16
	v_add_f32_e32 v29, v14, v22
	v_sub_f32_e32 v23, v18, v17
	v_add_f32_e32 v25, v15, v18
	v_add_f32_e32 v31, v24, v27
	;; [unrolled: 1-line block ×3, first 2 shown]
	v_sub_f32_e32 v19, v22, v34
	v_sub_f32_e32 v20, v24, v27
	;; [unrolled: 1-line block ×6, first 2 shown]
	v_add_f32_e32 v16, v8, v16
	v_fma_f32 v8, -0.5, v9, v13
	v_add_f32_e32 v21, v21, v23
	v_fma_f32 v30, -0.5, v25, v13
	;; [unrolled: 2-line block ×3, first 2 shown]
	v_fma_f32 v31, -0.5, v38, v14
	v_sub_f32_e32 v36, v22, v24
	v_sub_f32_e32 v37, v34, v27
	;; [unrolled: 1-line block ×4, first 2 shown]
	v_add_f32_e32 v13, v26, v28
	v_add_f32_e32 v16, v16, v17
	v_fmamk_f32 v26, v19, 0x3f737871, v8
	v_fmac_f32_e32 v8, 0xbf737871, v19
	v_fmamk_f32 v28, v20, 0xbf737871, v30
	v_fmac_f32_e32 v30, 0x3f737871, v20
	v_add_f32_e32 v17, v23, v27
	v_fmamk_f32 v27, v15, 0xbf737871, v9
	v_fmac_f32_e32 v9, 0x3f737871, v15
	v_fmamk_f32 v29, v35, 0x3f737871, v31
	v_fmac_f32_e32 v31, 0xbf737871, v35
	v_add_f32_e32 v36, v36, v37
	v_add_f32_e32 v14, v22, v39
	v_fmac_f32_e32 v26, 0x3f167918, v20
	v_fmac_f32_e32 v8, 0xbf167918, v20
	;; [unrolled: 1-line block ×8, first 2 shown]
	v_add_f32_e32 v24, v16, v18
	v_add_f32_e32 v25, v17, v34
	v_fmac_f32_e32 v26, 0x3e9e377a, v21
	v_fmac_f32_e32 v8, 0x3e9e377a, v21
	;; [unrolled: 1-line block ×8, first 2 shown]
	ds_write2_b64 v54, v[24:25], v[26:27] offset1:7
	ds_write2_b64 v54, v[28:29], v[30:31] offset0:14 offset1:21
	ds_write_b64 v54, v[8:9] offset:224
	s_waitcnt lgkmcnt(0)
	s_barrier
	buffer_gl0_inv
	s_and_saveexec_b32 s0, vcc_lo
	s_cbranch_execz .LBB0_9
; %bb.8:
	v_add_nc_u32_e32 v8, 0x800, v50
	v_add_nc_u32_e32 v9, 0x1000, v50
	ds_read2_b64 v[24:27], v50 offset1:140
	ds_read2_b64 v[28:31], v8 offset0:24 offset1:164
	ds_read2_b64 v[8:11], v9 offset0:48 offset1:188
	ds_read_b64 v[32:33], v50 offset:6720
.LBB0_9:
	s_or_b32 exec_lo, exec_lo, s0
	v_mul_lo_u16 v12, 0xeb, v12
	v_lshrrev_b16 v52, 13, v12
	v_mul_lo_u16 v12, v52, 35
	v_sub_nc_u16 v12, v49, v12
	v_and_b32_e32 v51, 0xff, v12
	v_mad_u64_u32 v[12:13], null, v51, 48, s[2:3]
	s_clause 0x2
	global_load_dwordx4 v[20:23], v[12:13], off offset:224
	global_load_dwordx4 v[16:19], v[12:13], off offset:240
	;; [unrolled: 1-line block ×3, first 2 shown]
	s_waitcnt vmcnt(0) lgkmcnt(0)
	s_barrier
	buffer_gl0_inv
	v_mul_f32_e32 v34, v27, v21
	v_mul_f32_e32 v35, v26, v21
	v_mul_f32_e32 v36, v29, v23
	v_mul_f32_e32 v37, v28, v23
	v_mul_f32_e32 v41, v8, v19
	v_mul_f32_e32 v42, v11, v13
	v_mul_f32_e32 v43, v10, v13
	v_mul_f32_e32 v45, v33, v15
	v_mul_f32_e32 v46, v32, v15
	v_mul_f32_e32 v38, v31, v17
	v_mul_f32_e32 v39, v30, v17
	v_mul_f32_e32 v40, v9, v19
	v_fma_f32 v26, v26, v20, -v34
	v_fmac_f32_e32 v35, v27, v20
	v_fma_f32 v27, v28, v22, -v36
	v_fmac_f32_e32 v37, v29, v22
	;; [unrolled: 2-line block ×3, first 2 shown]
	v_fmac_f32_e32 v41, v9, v18
	v_fma_f32 v9, v10, v12, -v42
	v_fmac_f32_e32 v43, v11, v12
	v_fma_f32 v28, v30, v16, -v38
	;; [unrolled: 2-line block ×3, first 2 shown]
	v_add_f32_e32 v10, v26, v29
	v_add_f32_e32 v11, v35, v46
	v_add_f32_e32 v30, v27, v9
	v_add_f32_e32 v31, v37, v43
	v_sub_f32_e32 v26, v26, v29
	v_sub_f32_e32 v29, v35, v46
	;; [unrolled: 1-line block ×4, first 2 shown]
	v_add_f32_e32 v32, v28, v8
	v_add_f32_e32 v33, v39, v41
	v_sub_f32_e32 v8, v8, v28
	v_sub_f32_e32 v28, v41, v39
	v_add_f32_e32 v34, v30, v10
	v_add_f32_e32 v35, v31, v11
	v_sub_f32_e32 v36, v30, v10
	v_sub_f32_e32 v37, v31, v11
	;; [unrolled: 1-line block ×6, first 2 shown]
	v_add_f32_e32 v38, v8, v9
	v_add_f32_e32 v39, v28, v27
	v_sub_f32_e32 v40, v8, v9
	v_sub_f32_e32 v41, v28, v27
	;; [unrolled: 1-line block ×4, first 2 shown]
	v_add_f32_e32 v32, v32, v34
	v_add_f32_e32 v33, v33, v35
	v_sub_f32_e32 v42, v26, v8
	v_sub_f32_e32 v28, v29, v28
	v_add_f32_e32 v34, v38, v26
	v_add_f32_e32 v29, v39, v29
	v_mul_f32_e32 v10, 0x3f4a47b2, v10
	v_mul_f32_e32 v11, 0x3f4a47b2, v11
	;; [unrolled: 1-line block ×8, first 2 shown]
	v_add_f32_e32 v8, v24, v32
	v_add_f32_e32 v9, v25, v33
	v_fmamk_f32 v30, v30, 0x3d64c772, v10
	v_fmamk_f32 v31, v31, 0x3d64c772, v11
	v_fma_f32 v41, 0x3f3bfb3b, v36, -v26
	v_fma_f32 v46, 0x3f3bfb3b, v37, -v27
	;; [unrolled: 1-line block ×4, first 2 shown]
	v_fmamk_f32 v10, v42, 0x3eae86e6, v35
	v_fmamk_f32 v11, v28, 0x3eae86e6, v38
	v_fma_f32 v27, 0x3f5ff5aa, v43, -v35
	v_fma_f32 v25, 0x3f5ff5aa, v45, -v38
	;; [unrolled: 1-line block ×4, first 2 shown]
	v_fmamk_f32 v28, v32, 0xbf955555, v8
	v_fmamk_f32 v32, v33, 0xbf955555, v9
	v_fmac_f32_e32 v10, 0x3ee1c552, v34
	v_fmac_f32_e32 v11, 0x3ee1c552, v29
	;; [unrolled: 1-line block ×6, first 2 shown]
	v_add_f32_e32 v34, v30, v28
	v_add_f32_e32 v36, v41, v28
	;; [unrolled: 1-line block ×7, first 2 shown]
	v_sub_f32_e32 v29, v39, v27
	v_sub_f32_e32 v30, v35, v24
	v_add_f32_e32 v31, v26, v38
	v_sub_f32_e32 v32, v34, v11
	v_add_f32_e32 v33, v10, v37
	s_and_saveexec_b32 s0, vcc_lo
	s_cbranch_execz .LBB0_11
; %bb.10:
	v_mov_b32_e32 v41, 0xf5
	v_add_f32_e32 v40, v27, v39
	v_sub_f32_e32 v39, v36, v25
	v_sub_f32_e32 v25, v38, v26
	;; [unrolled: 1-line block ×3, first 2 shown]
	v_mul_u32_u24_sdwa v41, v52, v41 dst_sel:DWORD dst_unused:UNUSED_PAD src0_sel:WORD_0 src1_sel:DWORD
	v_add_f32_e32 v26, v11, v34
	v_add_f32_e32 v24, v24, v35
	v_add_lshl_u32 v10, v41, v51, 3
	ds_write2_b64 v10, v[8:9], v[26:27] offset1:35
	ds_write2_b64 v10, v[24:25], v[39:40] offset0:70 offset1:105
	ds_write2_b64 v10, v[28:29], v[30:31] offset0:140 offset1:175
	ds_write_b64 v10, v[32:33] offset:1680
.LBB0_11:
	s_or_b32 exec_lo, exec_lo, s0
	v_add_nc_u32_e32 v55, 0xf00, v50
	s_waitcnt lgkmcnt(0)
	s_barrier
	buffer_gl0_inv
	ds_read2_b64 v[36:39], v50 offset1:245
	ds_read2_b64 v[40:43], v55 offset0:10 offset1:255
	v_cmp_gt_u16_e64 s0, 49, v49
	s_and_saveexec_b32 s1, s0
	s_cbranch_execz .LBB0_13
; %bb.12:
	v_add_nc_u32_e32 v8, 0x600, v50
	v_add_nc_u32_e32 v9, 0x1540, v50
	ds_read2_b64 v[28:31], v8 offset0:4 offset1:249
	ds_read2_b64 v[32:35], v9 offset0:6 offset1:251
.LBB0_13:
	s_or_b32 exec_lo, exec_lo, s1
	v_add_nc_u32_e32 v10, 0xc4, v49
	v_subrev_nc_u32_e32 v11, 49, v49
	v_mad_u64_u32 v[8:9], null, v49, 24, s[2:3]
	s_clause 0x1
	global_load_dwordx4 v[24:27], v[8:9], off offset:1904
	global_load_dwordx2 v[47:48], v[8:9], off offset:1920
	v_cndmask_b32_e64 v10, v11, v10, s0
	v_mul_i32_i24_e32 v8, 24, v10
	v_mul_hi_i32_i24_e32 v9, 24, v10
	v_add_co_u32 v45, s1, s2, v8
	v_add_co_ci_u32_e64 v46, s1, s3, v9, s1
	s_clause 0x1
	global_load_dwordx4 v[8:11], v[45:46], off offset:1904
	global_load_dwordx2 v[45:46], v[45:46], off offset:1920
	s_waitcnt vmcnt(3) lgkmcnt(1)
	v_mul_f32_e32 v56, v39, v25
	v_mul_f32_e32 v57, v38, v25
	s_waitcnt lgkmcnt(0)
	v_mul_f32_e32 v58, v41, v27
	v_mul_f32_e32 v59, v40, v27
	s_waitcnt vmcnt(2)
	v_mul_f32_e32 v60, v43, v48
	v_mul_f32_e32 v61, v42, v48
	v_fma_f32 v38, v38, v24, -v56
	v_fmac_f32_e32 v57, v39, v24
	v_fma_f32 v39, v40, v26, -v58
	v_fmac_f32_e32 v59, v41, v26
	;; [unrolled: 2-line block ×3, first 2 shown]
	v_sub_f32_e32 v41, v36, v39
	v_sub_f32_e32 v42, v37, v59
	;; [unrolled: 1-line block ×4, first 2 shown]
	s_waitcnt vmcnt(1)
	v_mul_f32_e32 v43, v31, v9
	v_mul_f32_e32 v56, v30, v9
	;; [unrolled: 1-line block ×4, first 2 shown]
	s_waitcnt vmcnt(0)
	v_mul_f32_e32 v60, v35, v46
	v_mul_f32_e32 v61, v34, v46
	v_fma_f32 v30, v30, v8, -v43
	v_fmac_f32_e32 v56, v31, v8
	v_fma_f32 v31, v32, v10, -v58
	v_fmac_f32_e32 v59, v33, v10
	v_fma_f32 v32, v34, v45, -v60
	v_fmac_f32_e32 v61, v35, v45
	v_fma_f32 v62, v36, 2.0, -v41
	v_fma_f32 v63, v37, 2.0, -v42
	;; [unrolled: 1-line block ×4, first 2 shown]
	v_sub_f32_e32 v38, v41, v40
	v_sub_f32_e32 v40, v28, v31
	;; [unrolled: 1-line block ×5, first 2 shown]
	v_fma_f32 v34, v41, 2.0, -v38
	v_fma_f32 v41, v28, 2.0, -v40
	;; [unrolled: 1-line block ×5, first 2 shown]
	v_add_f32_e32 v39, v42, v39
	v_sub_f32_e32 v36, v62, v36
	v_sub_f32_e32 v37, v63, v37
	v_sub_f32_e32 v30, v40, v33
	v_sub_f32_e32 v28, v41, v28
	v_sub_f32_e32 v29, v57, v29
	v_add_f32_e32 v31, v43, v31
	v_fma_f32 v35, v42, 2.0, -v39
	v_fma_f32 v32, v62, 2.0, -v36
	;; [unrolled: 1-line block ×7, first 2 shown]
	ds_write2_b64 v50, v[32:33], v[34:35] offset1:245
	ds_write2_b64 v55, v[36:37], v[38:39] offset0:10 offset1:255
	s_and_saveexec_b32 s1, s0
	s_cbranch_execz .LBB0_15
; %bb.14:
	v_add_nc_u32_e32 v55, 0x600, v50
	v_add_nc_u32_e32 v56, 0x1540, v50
	ds_write2_b64 v55, v[40:41], v[42:43] offset0:4 offset1:249
	ds_write2_b64 v56, v[28:29], v[30:31] offset0:6 offset1:251
.LBB0_15:
	s_or_b32 exec_lo, exec_lo, s1
	s_waitcnt lgkmcnt(0)
	s_barrier
	buffer_gl0_inv
	s_and_saveexec_b32 s2, vcc_lo
	s_cbranch_execz .LBB0_17
; %bb.16:
	v_add_co_u32 v63, s1, s14, v50
	v_add_co_ci_u32_e64 v64, null, s15, 0, s1
	v_add_nc_u32_e32 v80, 0x400, v50
	v_add_co_u32 v55, s1, 0x1800, v63
	v_add_co_ci_u32_e64 v56, s1, 0, v64, s1
	v_add_co_u32 v57, s1, 0x2000, v63
	v_add_co_ci_u32_e64 v58, s1, 0, v64, s1
	global_load_dwordx2 v[55:56], v[55:56], off offset:1696
	v_add_co_u32 v59, s1, 0x2800, v63
	v_add_co_ci_u32_e64 v60, s1, 0, v64, s1
	v_add_co_u32 v61, s1, 0x1ea0, v63
	v_add_co_ci_u32_e64 v62, s1, 0, v64, s1
	s_clause 0x2
	global_load_dwordx2 v[67:68], v[57:58], off offset:1888
	global_load_dwordx2 v[69:70], v[59:60], off offset:960
	;; [unrolled: 1-line block ×3, first 2 shown]
	v_add_co_u32 v57, s1, 0x3000, v63
	v_add_co_ci_u32_e64 v58, s1, 0, v64, s1
	v_add_co_u32 v59, s1, 0x3800, v63
	v_add_co_ci_u32_e64 v60, s1, 0, v64, s1
	s_clause 0x2
	global_load_dwordx2 v[73:74], v[57:58], off offset:32
	global_load_dwordx2 v[75:76], v[57:58], off offset:1152
	;; [unrolled: 1-line block ×3, first 2 shown]
	ds_read_b64 v[57:58], v50
	v_add_nc_u32_e32 v81, 0xc00, v50
	v_add_nc_u32_e32 v82, 0x1400, v50
	s_waitcnt vmcnt(6) lgkmcnt(0)
	v_mul_f32_e32 v59, v58, v56
	v_mul_f32_e32 v60, v57, v56
	v_fma_f32 v59, v57, v55, -v59
	v_fmac_f32_e32 v60, v58, v55
	ds_write_b64 v50, v[59:60]
	ds_read2_b64 v[55:58], v80 offset0:12 offset1:152
	ds_read2_b64 v[59:62], v81 offset0:36 offset1:176
	;; [unrolled: 1-line block ×3, first 2 shown]
	s_waitcnt vmcnt(4) lgkmcnt(1)
	v_mul_f32_e32 v85, v60, v70
	s_waitcnt vmcnt(3)
	v_mul_f32_e32 v83, v56, v72
	v_mul_f32_e32 v79, v55, v72
	;; [unrolled: 1-line block ×5, first 2 shown]
	s_waitcnt vmcnt(2)
	v_mul_f32_e32 v86, v62, v74
	v_mul_f32_e32 v70, v61, v74
	s_waitcnt vmcnt(1) lgkmcnt(0)
	v_mul_f32_e32 v87, v64, v76
	v_mul_f32_e32 v74, v63, v76
	s_waitcnt vmcnt(0)
	v_mul_f32_e32 v88, v66, v78
	v_mul_f32_e32 v76, v65, v78
	v_fma_f32 v78, v55, v71, -v83
	v_fmac_f32_e32 v79, v56, v71
	v_fma_f32 v71, v57, v67, -v84
	v_fmac_f32_e32 v72, v58, v67
	;; [unrolled: 2-line block ×6, first 2 shown]
	ds_write2_b64 v80, v[78:79], v[71:72] offset0:12 offset1:152
	ds_write2_b64 v81, v[67:68], v[69:70] offset0:36 offset1:176
	;; [unrolled: 1-line block ×3, first 2 shown]
.LBB0_17:
	s_or_b32 exec_lo, exec_lo, s2
	s_waitcnt lgkmcnt(0)
	s_barrier
	buffer_gl0_inv
	s_and_saveexec_b32 s1, vcc_lo
	s_cbranch_execz .LBB0_19
; %bb.18:
	v_add_nc_u32_e32 v28, 0x800, v50
	v_add_nc_u32_e32 v29, 0x1000, v50
	ds_read2_b64 v[32:35], v50 offset1:140
	ds_read2_b64 v[36:39], v28 offset0:24 offset1:164
	ds_read2_b64 v[40:43], v29 offset0:48 offset1:188
	ds_read_b64 v[28:29], v50 offset:6720
.LBB0_19:
	s_or_b32 exec_lo, exec_lo, s1
	s_waitcnt lgkmcnt(0)
	v_add_f32_e32 v55, v28, v34
	v_add_f32_e32 v56, v29, v35
	v_sub_f32_e32 v28, v34, v28
	v_sub_f32_e32 v29, v35, v29
	v_add_f32_e32 v34, v42, v36
	v_add_f32_e32 v35, v43, v37
	v_sub_f32_e32 v42, v36, v42
	v_sub_f32_e32 v43, v37, v43
	;; [unrolled: 4-line block ×4, first 2 shown]
	v_sub_f32_e32 v55, v55, v57
	v_sub_f32_e32 v60, v56, v58
	;; [unrolled: 1-line block ×4, first 2 shown]
	v_add_f32_e32 v34, v38, v42
	v_add_f32_e32 v35, v39, v43
	v_sub_f32_e32 v61, v38, v42
	v_sub_f32_e32 v62, v39, v43
	;; [unrolled: 1-line block ×5, first 2 shown]
	v_add_f32_e32 v39, v57, v40
	v_add_f32_e32 v40, v58, v59
	v_sub_f32_e32 v42, v43, v29
	v_add_f32_e32 v64, v34, v28
	v_add_f32_e32 v59, v35, v29
	;; [unrolled: 1-line block ×4, first 2 shown]
	v_mul_f32_e32 v28, 0x3f4a47b2, v55
	v_mul_f32_e32 v29, 0x3f4a47b2, v60
	;; [unrolled: 1-line block ×6, first 2 shown]
	v_fmamk_f32 v58, v39, 0xbf955555, v32
	v_fmamk_f32 v62, v40, 0xbf955555, v33
	;; [unrolled: 1-line block ×4, first 2 shown]
	v_fma_f32 v28, 0xbf3bfb3b, v36, -v28
	v_fma_f32 v29, 0xbf3bfb3b, v37, -v29
	v_fmamk_f32 v38, v67, 0xbeae86e6, v65
	v_fmamk_f32 v39, v68, 0xbeae86e6, v61
	v_fma_f32 v55, 0x3eae86e6, v67, -v66
	v_fma_f32 v40, 0x3eae86e6, v68, -v63
	v_add_f32_e32 v42, v34, v58
	v_add_f32_e32 v57, v35, v62
	;; [unrolled: 1-line block ×4, first 2 shown]
	v_fmac_f32_e32 v40, 0xbee1c552, v59
	v_fmac_f32_e32 v55, 0xbee1c552, v64
	;; [unrolled: 1-line block ×4, first 2 shown]
	v_sub_f32_e32 v34, v43, v40
	v_add_f32_e32 v35, v55, v60
	v_sub_f32_e32 v28, v42, v39
	v_add_f32_e32 v29, v38, v57
	s_barrier
	buffer_gl0_inv
	s_and_saveexec_b32 s1, vcc_lo
	s_cbranch_execz .LBB0_21
; %bb.20:
	v_mul_f32_e32 v56, 0x3d64c772, v56
	v_mul_f32_e32 v37, 0x3f3bfb3b, v37
	v_mul_f32_e32 v41, 0x3d64c772, v41
	v_mul_f32_e32 v36, 0x3f3bfb3b, v36
	v_mul_f32_e32 v64, 0xbee1c552, v64
	v_sub_f32_e32 v65, v66, v65
	v_sub_f32_e32 v37, v37, v56
	v_mul_f32_e32 v56, 0xbee1c552, v59
	v_sub_f32_e32 v59, v63, v61
	v_sub_f32_e32 v36, v36, v41
	v_add_f32_e32 v41, v64, v65
	v_add_f32_e32 v61, v37, v62
	;; [unrolled: 1-line block ×5, first 2 shown]
	v_sub_f32_e32 v56, v57, v38
	v_sub_f32_e32 v37, v61, v41
	v_add_f32_e32 v59, v41, v61
	v_mov_b32_e32 v61, 3
	v_sub_f32_e32 v41, v60, v55
	v_add_f32_e32 v55, v42, v39
	v_sub_f32_e32 v58, v36, v62
	v_add_f32_e32 v36, v62, v36
	v_lshlrev_b32_sdwa v38, v61, v53 dst_sel:DWORD dst_unused:UNUSED_PAD src0_sel:DWORD src1_sel:WORD_0
	ds_write2_b64 v38, v[32:33], v[55:56] offset1:1
	ds_write2_b64 v38, v[40:41], v[58:59] offset0:2 offset1:3
	ds_write2_b64 v38, v[36:37], v[34:35] offset0:4 offset1:5
	ds_write_b64 v38, v[28:29] offset:48
.LBB0_21:
	s_or_b32 exec_lo, exec_lo, s1
	s_waitcnt lgkmcnt(0)
	s_barrier
	buffer_gl0_inv
	ds_read2_b64 v[36:39], v50 offset1:196
	v_add_nc_u32_e32 v40, 0xc00, v50
	ds_read_b64 v[32:33], v50 offset:6272
	ds_read2_b64 v[40:43], v40 offset0:8 offset1:204
	s_waitcnt lgkmcnt(0)
	s_barrier
	buffer_gl0_inv
	v_mul_f32_e32 v53, v5, v39
	v_mul_f32_e32 v5, v5, v38
	v_mul_f32_e32 v55, v3, v33
	v_fmac_f32_e32 v53, v4, v38
	v_fma_f32 v38, v4, v39, -v5
	v_mul_f32_e32 v5, v7, v41
	v_mul_f32_e32 v4, v7, v40
	;; [unrolled: 1-line block ×4, first 2 shown]
	v_fmac_f32_e32 v55, v2, v32
	v_fmac_f32_e32 v5, v6, v40
	v_mul_f32_e32 v1, v1, v42
	v_fmac_f32_e32 v7, v0, v42
	v_fma_f32 v39, v2, v33, -v3
	v_add_f32_e32 v2, v53, v55
	v_fma_f32 v40, v6, v41, -v4
	v_fma_f32 v1, v0, v43, -v1
	v_add_f32_e32 v32, v5, v7
	v_add_f32_e32 v0, v36, v53
	v_sub_f32_e32 v3, v38, v39
	v_sub_f32_e32 v41, v53, v55
	;; [unrolled: 1-line block ×3, first 2 shown]
	v_fma_f32 v6, -0.5, v2, v36
	v_sub_f32_e32 v2, v5, v53
	v_sub_f32_e32 v53, v7, v55
	v_fma_f32 v32, -0.5, v32, v36
	v_sub_f32_e32 v43, v40, v1
	v_sub_f32_e32 v56, v55, v7
	v_add_f32_e32 v4, v37, v38
	v_add_f32_e32 v53, v2, v53
	v_fmamk_f32 v2, v3, 0xbf737871, v32
	v_fmac_f32_e32 v32, 0x3f737871, v3
	v_add_f32_e32 v42, v38, v39
	v_add_f32_e32 v0, v0, v5
	;; [unrolled: 1-line block ×4, first 2 shown]
	v_fmac_f32_e32 v2, 0xbf167918, v43
	v_fmac_f32_e32 v32, 0x3f167918, v43
	v_add_f32_e32 v57, v4, v40
	v_add_f32_e32 v0, v0, v7
	v_fmamk_f32 v4, v43, 0x3f737871, v6
	v_fmac_f32_e32 v6, 0xbf737871, v43
	v_fma_f32 v33, -0.5, v58, v37
	v_fmac_f32_e32 v2, 0x3e9e377a, v36
	v_fmac_f32_e32 v32, 0x3e9e377a, v36
	v_sub_f32_e32 v36, v5, v7
	v_fma_f32 v7, -0.5, v42, v37
	v_fmac_f32_e32 v4, 0xbf167918, v3
	v_fmac_f32_e32 v6, 0x3f167918, v3
	v_fmamk_f32 v3, v41, 0x3f737871, v33
	v_add_f32_e32 v43, v57, v1
	v_sub_f32_e32 v37, v38, v40
	v_sub_f32_e32 v42, v39, v1
	v_fmac_f32_e32 v33, 0xbf737871, v41
	v_fmamk_f32 v5, v36, 0xbf737871, v7
	v_sub_f32_e32 v38, v40, v38
	v_sub_f32_e32 v1, v1, v39
	v_fmac_f32_e32 v7, 0x3f737871, v36
	v_fmac_f32_e32 v3, 0x3f167918, v36
	v_add_f32_e32 v37, v37, v42
	v_fmac_f32_e32 v33, 0xbf167918, v36
	v_fmac_f32_e32 v5, 0x3f167918, v41
	v_add_f32_e32 v36, v38, v1
	v_fmac_f32_e32 v7, 0xbf167918, v41
	v_add_f32_e32 v0, v0, v55
	v_fmac_f32_e32 v4, 0x3e9e377a, v53
	v_fmac_f32_e32 v6, 0x3e9e377a, v53
	v_add_f32_e32 v1, v43, v39
	v_fmac_f32_e32 v3, 0x3e9e377a, v37
	v_fmac_f32_e32 v33, 0x3e9e377a, v37
	v_fmac_f32_e32 v5, 0x3e9e377a, v36
	v_fmac_f32_e32 v7, 0x3e9e377a, v36
	ds_write2_b64 v54, v[0:1], v[2:3] offset1:7
	ds_write2_b64 v54, v[4:5], v[6:7] offset0:14 offset1:21
	ds_write_b64 v54, v[32:33] offset:224
	s_waitcnt lgkmcnt(0)
	s_barrier
	buffer_gl0_inv
	s_and_saveexec_b32 s1, vcc_lo
	s_cbranch_execz .LBB0_23
; %bb.22:
	v_add_nc_u32_e32 v4, 0x800, v50
	v_add_nc_u32_e32 v28, 0x1000, v50
	ds_read2_b64 v[0:3], v50 offset1:140
	ds_read2_b64 v[4:7], v4 offset0:24 offset1:164
	ds_read2_b64 v[32:35], v28 offset0:48 offset1:188
	ds_read_b64 v[28:29], v50 offset:6720
.LBB0_23:
	s_or_b32 exec_lo, exec_lo, s1
	s_waitcnt lgkmcnt(3)
	v_mul_f32_e32 v36, v21, v3
	v_mul_f32_e32 v21, v21, v2
	s_waitcnt lgkmcnt(2)
	v_mul_f32_e32 v37, v23, v5
	v_mul_f32_e32 v23, v23, v4
	s_waitcnt lgkmcnt(0)
	v_fmac_f32_e32 v36, v20, v2
	v_fma_f32 v2, v20, v3, -v21
	v_mul_f32_e32 v3, v17, v7
	v_mul_f32_e32 v17, v17, v6
	v_fmac_f32_e32 v37, v22, v4
	v_fma_f32 v4, v22, v5, -v23
	v_mul_f32_e32 v20, v19, v33
	v_fmac_f32_e32 v3, v16, v6
	v_fma_f32 v5, v16, v7, -v17
	v_mul_f32_e32 v6, v15, v29
	v_mul_f32_e32 v7, v15, v28
	;; [unrolled: 1-line block ×5, first 2 shown]
	v_fmac_f32_e32 v6, v14, v28
	v_fma_f32 v7, v14, v29, -v7
	v_fmac_f32_e32 v16, v12, v34
	v_fma_f32 v12, v12, v35, -v13
	;; [unrolled: 2-line block ×3, first 2 shown]
	v_add_f32_e32 v13, v6, v36
	v_add_f32_e32 v15, v7, v2
	v_sub_f32_e32 v2, v2, v7
	v_add_f32_e32 v7, v16, v37
	v_add_f32_e32 v17, v12, v4
	v_sub_f32_e32 v6, v36, v6
	v_sub_f32_e32 v16, v37, v16
	;; [unrolled: 1-line block ×3, first 2 shown]
	v_add_f32_e32 v12, v3, v20
	v_add_f32_e32 v18, v5, v14
	v_sub_f32_e32 v3, v20, v3
	v_sub_f32_e32 v5, v14, v5
	v_add_f32_e32 v14, v7, v13
	v_add_f32_e32 v19, v17, v15
	v_sub_f32_e32 v20, v7, v13
	v_sub_f32_e32 v21, v17, v15
	;; [unrolled: 1-line block ×6, first 2 shown]
	v_add_f32_e32 v22, v3, v16
	v_add_f32_e32 v23, v5, v4
	v_sub_f32_e32 v28, v3, v16
	v_sub_f32_e32 v29, v5, v4
	;; [unrolled: 1-line block ×3, first 2 shown]
	v_add_f32_e32 v12, v12, v14
	v_add_f32_e32 v14, v18, v19
	v_sub_f32_e32 v18, v4, v2
	v_sub_f32_e32 v3, v6, v3
	;; [unrolled: 1-line block ×3, first 2 shown]
	v_add_f32_e32 v22, v22, v6
	v_add_f32_e32 v2, v23, v2
	;; [unrolled: 1-line block ×4, first 2 shown]
	v_mul_f32_e32 v0, 0x3f4a47b2, v13
	v_mul_f32_e32 v1, 0x3f4a47b2, v15
	;; [unrolled: 1-line block ×8, first 2 shown]
	v_fmamk_f32 v29, v12, 0xbf955555, v4
	v_fmamk_f32 v33, v14, 0xbf955555, v5
	;; [unrolled: 1-line block ×4, first 2 shown]
	v_fma_f32 v35, 0x3f3bfb3b, v20, -v6
	v_fma_f32 v36, 0x3f3bfb3b, v21, -v13
	;; [unrolled: 1-line block ×4, first 2 shown]
	v_fmamk_f32 v6, v3, 0xbeae86e6, v15
	v_fmamk_f32 v7, v32, 0xbeae86e6, v19
	v_fma_f32 v16, 0xbf5ff5aa, v16, -v15
	v_fma_f32 v14, 0xbf5ff5aa, v18, -v19
	;; [unrolled: 1-line block ×4, first 2 shown]
	v_add_f32_e32 v13, v34, v29
	v_add_f32_e32 v17, v17, v33
	;; [unrolled: 1-line block ×6, first 2 shown]
	v_fmac_f32_e32 v6, 0xbee1c552, v22
	v_fmac_f32_e32 v14, 0xbee1c552, v2
	;; [unrolled: 1-line block ×6, first 2 shown]
	v_add_f32_e32 v0, v14, v19
	v_sub_f32_e32 v1, v21, v16
	v_sub_f32_e32 v2, v18, v12
	v_add_f32_e32 v3, v15, v20
	v_sub_f32_e32 v28, v13, v7
	v_add_f32_e32 v29, v6, v17
	s_barrier
	buffer_gl0_inv
	s_and_saveexec_b32 s1, vcc_lo
	s_cbranch_execz .LBB0_25
; %bb.24:
	v_mov_b32_e32 v23, 0xf5
	v_add_f32_e32 v22, v16, v21
	v_sub_f32_e32 v21, v19, v14
	v_sub_f32_e32 v14, v20, v15
	;; [unrolled: 1-line block ×3, first 2 shown]
	v_mul_u32_u24_sdwa v23, v52, v23 dst_sel:DWORD dst_unused:UNUSED_PAD src0_sel:WORD_0 src1_sel:DWORD
	v_add_f32_e32 v15, v7, v13
	v_add_f32_e32 v13, v12, v18
	v_add_lshl_u32 v6, v23, v51, 3
	ds_write2_b64 v6, v[4:5], v[15:16] offset1:35
	ds_write2_b64 v6, v[13:14], v[21:22] offset0:70 offset1:105
	ds_write2_b64 v6, v[0:1], v[2:3] offset0:140 offset1:175
	ds_write_b64 v6, v[28:29] offset:1680
.LBB0_25:
	s_or_b32 exec_lo, exec_lo, s1
	v_add_nc_u32_e32 v16, 0xf00, v50
	s_waitcnt lgkmcnt(0)
	s_barrier
	buffer_gl0_inv
	ds_read2_b64 v[4:7], v50 offset1:245
	ds_read2_b64 v[12:15], v16 offset0:10 offset1:255
	s_and_saveexec_b32 s1, s0
	s_cbranch_execz .LBB0_27
; %bb.26:
	v_add_nc_u32_e32 v0, 0x600, v50
	v_add_nc_u32_e32 v17, 0x1540, v50
	ds_read2_b64 v[0:3], v0 offset0:4 offset1:249
	ds_read2_b64 v[28:31], v17 offset0:6 offset1:251
.LBB0_27:
	s_or_b32 exec_lo, exec_lo, s1
	s_waitcnt lgkmcnt(1)
	v_mul_f32_e32 v17, v25, v7
	v_mul_f32_e32 v18, v25, v6
	s_waitcnt lgkmcnt(0)
	v_mul_f32_e32 v19, v27, v13
	v_mul_f32_e32 v20, v27, v12
	;; [unrolled: 1-line block ×3, first 2 shown]
	v_fmac_f32_e32 v17, v24, v6
	v_mul_f32_e32 v6, v48, v14
	v_fma_f32 v7, v24, v7, -v18
	v_fmac_f32_e32 v19, v26, v12
	v_fmac_f32_e32 v21, v47, v14
	v_fma_f32 v12, v26, v13, -v20
	v_fma_f32 v6, v47, v15, -v6
	v_sub_f32_e32 v13, v4, v19
	v_sub_f32_e32 v14, v17, v21
	;; [unrolled: 1-line block ×4, first 2 shown]
	v_fma_f32 v18, v4, 2.0, -v13
	v_fma_f32 v12, v17, 2.0, -v14
	;; [unrolled: 1-line block ×4, first 2 shown]
	v_add_f32_e32 v4, v13, v6
	v_sub_f32_e32 v5, v15, v14
	v_sub_f32_e32 v6, v18, v12
	;; [unrolled: 1-line block ×3, first 2 shown]
	v_fma_f32 v12, v13, 2.0, -v4
	v_fma_f32 v13, v15, 2.0, -v5
	;; [unrolled: 1-line block ×4, first 2 shown]
	ds_write2_b64 v50, v[14:15], v[12:13] offset1:245
	ds_write2_b64 v16, v[6:7], v[4:5] offset0:10 offset1:255
	s_and_saveexec_b32 s1, s0
	s_cbranch_execz .LBB0_29
; %bb.28:
	v_mul_f32_e32 v4, v11, v28
	v_mul_f32_e32 v5, v9, v3
	;; [unrolled: 1-line block ×6, first 2 shown]
	v_fma_f32 v4, v10, v29, -v4
	v_fmac_f32_e32 v5, v8, v2
	v_fma_f32 v2, v8, v3, -v7
	v_fma_f32 v3, v45, v31, -v9
	v_fmac_f32_e32 v6, v10, v28
	v_fmac_f32_e32 v11, v45, v30
	v_sub_f32_e32 v4, v1, v4
	v_sub_f32_e32 v3, v2, v3
	;; [unrolled: 1-line block ×4, first 2 shown]
	v_fma_f32 v8, v1, 2.0, -v4
	v_fma_f32 v2, v2, 2.0, -v3
	;; [unrolled: 1-line block ×4, first 2 shown]
	v_sub_f32_e32 v1, v4, v7
	v_add_f32_e32 v0, v6, v3
	v_sub_f32_e32 v3, v8, v2
	v_sub_f32_e32 v2, v9, v5
	v_fma_f32 v5, v4, 2.0, -v1
	v_fma_f32 v4, v6, 2.0, -v0
	;; [unrolled: 1-line block ×3, first 2 shown]
	v_add_nc_u32_e32 v8, 0x600, v50
	v_fma_f32 v6, v9, 2.0, -v2
	v_add_nc_u32_e32 v9, 0x1540, v50
	ds_write2_b64 v8, v[6:7], v[4:5] offset0:4 offset1:249
	ds_write2_b64 v9, v[2:3], v[0:1] offset0:6 offset1:251
.LBB0_29:
	s_or_b32 exec_lo, exec_lo, s1
	s_waitcnt lgkmcnt(0)
	s_barrier
	buffer_gl0_inv
	s_and_b32 exec_lo, exec_lo, vcc_lo
	s_cbranch_execz .LBB0_31
; %bb.30:
	v_add_co_u32 v2, s0, s14, v50
	v_add_co_ci_u32_e64 v3, null, s15, 0, s0
	s_clause 0x1
	global_load_dwordx2 v[12:13], v50, s[14:15]
	global_load_dwordx2 v[14:15], v50, s[14:15] offset:1120
	v_add_co_u32 v0, vcc_lo, 0x800, v2
	v_add_co_ci_u32_e32 v1, vcc_lo, 0, v3, vcc_lo
	v_mad_u64_u32 v[26:27], null, s6, v44, 0
	v_mad_u64_u32 v[28:29], null, s4, v49, 0
	s_clause 0x1
	global_load_dwordx2 v[16:17], v[0:1], off offset:192
	global_load_dwordx2 v[18:19], v[0:1], off offset:1312
	v_add_co_u32 v0, vcc_lo, 0x1000, v2
	v_add_co_ci_u32_e32 v1, vcc_lo, 0, v3, vcc_lo
	v_add_co_u32 v2, vcc_lo, 0x1800, v2
	v_add_co_ci_u32_e32 v3, vcc_lo, 0, v3, vcc_lo
	s_clause 0x2
	global_load_dwordx2 v[20:21], v[0:1], off offset:384
	global_load_dwordx2 v[22:23], v[0:1], off offset:1504
	;; [unrolled: 1-line block ×3, first 2 shown]
	v_add_nc_u32_e32 v0, 0x400, v50
	ds_read_b64 v[30:31], v50
	ds_read2_b64 v[0:3], v0 offset0:12 offset1:152
	v_mov_b32_e32 v4, v27
	v_mov_b32_e32 v5, v29
	v_add_nc_u32_e32 v6, 0xc00, v50
	v_add_nc_u32_e32 v8, 0x1400, v50
	s_mov_b32 s0, 0xec259dc8
	s_mov_b32 s1, 0x3f50b7e6
	v_mad_u64_u32 v[32:33], null, s7, v44, v[4:5]
	v_mad_u64_u32 v[33:34], null, s5, v49, v[5:6]
	ds_read2_b64 v[4:7], v6 offset0:36 offset1:176
	ds_read2_b64 v[8:11], v8 offset0:60 offset1:200
	s_mul_i32 s2, s5, 0x460
	s_mul_hi_u32 s3, s4, 0x460
	s_mulk_i32 s4, 0x460
	v_mov_b32_e32 v27, v32
	s_add_i32 s3, s3, s2
	v_mov_b32_e32 v29, v33
	v_lshlrev_b64 v[26:27], 3, v[26:27]
	v_add_co_u32 v26, vcc_lo, s12, v26
	v_add_co_ci_u32_e32 v27, vcc_lo, s13, v27, vcc_lo
	s_waitcnt vmcnt(6) lgkmcnt(3)
	v_mul_f32_e32 v32, v31, v13
	s_waitcnt vmcnt(5) lgkmcnt(2)
	v_mul_f32_e32 v33, v1, v15
	v_mul_f32_e32 v13, v30, v13
	;; [unrolled: 1-line block ×3, first 2 shown]
	v_fmac_f32_e32 v32, v30, v12
	v_fmac_f32_e32 v33, v0, v14
	v_fma_f32 v30, v12, v31, -v13
	v_fma_f32 v31, v14, v1, -v15
	v_lshlrev_b64 v[0:1], 3, v[28:29]
	v_cvt_f64_f32_e32 v[12:13], v32
	s_waitcnt vmcnt(4)
	v_mul_f32_e32 v32, v3, v17
	v_mul_f32_e32 v17, v2, v17
	v_cvt_f64_f32_e32 v[28:29], v33
	s_waitcnt vmcnt(3) lgkmcnt(1)
	v_mul_f32_e32 v33, v5, v19
	v_mul_f32_e32 v19, v4, v19
	v_fmac_f32_e32 v32, v2, v16
	v_fma_f32 v16, v16, v3, -v17
	s_waitcnt vmcnt(2)
	v_mul_f32_e32 v34, v7, v21
	v_mul_f32_e32 v21, v6, v21
	s_waitcnt vmcnt(1) lgkmcnt(0)
	v_mul_f32_e32 v35, v9, v23
	v_mul_f32_e32 v23, v8, v23
	s_waitcnt vmcnt(0)
	v_mul_f32_e32 v36, v11, v25
	v_mul_f32_e32 v25, v10, v25
	v_fmac_f32_e32 v33, v4, v18
	v_fma_f32 v17, v18, v5, -v19
	v_fmac_f32_e32 v34, v6, v20
	v_fma_f32 v18, v20, v7, -v21
	v_cvt_f64_f32_e32 v[14:15], v30
	v_fmac_f32_e32 v35, v8, v22
	v_fma_f32 v20, v22, v9, -v23
	v_cvt_f64_f32_e32 v[30:31], v31
	;; [unrolled: 3-line block ×3, first 2 shown]
	v_cvt_f64_f32_e32 v[4:5], v16
	v_cvt_f64_f32_e32 v[6:7], v33
	;; [unrolled: 1-line block ×9, first 2 shown]
	v_add_co_u32 v0, vcc_lo, v26, v0
	v_mul_f64 v[12:13], v[12:13], s[0:1]
	v_add_co_ci_u32_e32 v1, vcc_lo, v27, v1, vcc_lo
	v_mul_f64 v[26:27], v[28:29], s[0:1]
	v_mul_f64 v[14:15], v[14:15], s[0:1]
	v_mul_f64 v[28:29], v[30:31], s[0:1]
	v_add_co_u32 v30, vcc_lo, v0, s4
	v_mul_f64 v[2:3], v[2:3], s[0:1]
	v_mul_f64 v[4:5], v[4:5], s[0:1]
	;; [unrolled: 1-line block ×10, first 2 shown]
	v_add_co_ci_u32_e32 v31, vcc_lo, s3, v1, vcc_lo
	v_add_co_u32 v32, vcc_lo, v30, s4
	v_cvt_f32_f64_e32 v12, v[12:13]
	v_add_co_ci_u32_e32 v33, vcc_lo, s3, v31, vcc_lo
	v_cvt_f32_f64_e32 v13, v[14:15]
	v_cvt_f32_f64_e32 v14, v[26:27]
	;; [unrolled: 1-line block ×11, first 2 shown]
	v_add_co_u32 v16, vcc_lo, v32, s4
	v_cvt_f32_f64_e32 v10, v[22:23]
	v_cvt_f32_f64_e32 v11, v[24:25]
	v_add_co_ci_u32_e32 v17, vcc_lo, s3, v33, vcc_lo
	v_add_co_u32 v18, vcc_lo, v16, s4
	v_add_co_ci_u32_e32 v19, vcc_lo, s3, v17, vcc_lo
	v_add_co_u32 v20, vcc_lo, v18, s4
	;; [unrolled: 2-line block ×3, first 2 shown]
	v_add_co_ci_u32_e32 v23, vcc_lo, s3, v21, vcc_lo
	global_store_dwordx2 v[0:1], v[12:13], off
	global_store_dwordx2 v[30:31], v[14:15], off
	;; [unrolled: 1-line block ×7, first 2 shown]
.LBB0_31:
	s_endpgm
	.section	.rodata,"a",@progbits
	.p2align	6, 0x0
	.amdhsa_kernel bluestein_single_back_len980_dim1_sp_op_CI_CI
		.amdhsa_group_segment_fixed_size 7840
		.amdhsa_private_segment_fixed_size 0
		.amdhsa_kernarg_size 104
		.amdhsa_user_sgpr_count 6
		.amdhsa_user_sgpr_private_segment_buffer 1
		.amdhsa_user_sgpr_dispatch_ptr 0
		.amdhsa_user_sgpr_queue_ptr 0
		.amdhsa_user_sgpr_kernarg_segment_ptr 1
		.amdhsa_user_sgpr_dispatch_id 0
		.amdhsa_user_sgpr_flat_scratch_init 0
		.amdhsa_user_sgpr_private_segment_size 0
		.amdhsa_wavefront_size32 1
		.amdhsa_uses_dynamic_stack 0
		.amdhsa_system_sgpr_private_segment_wavefront_offset 0
		.amdhsa_system_sgpr_workgroup_id_x 1
		.amdhsa_system_sgpr_workgroup_id_y 0
		.amdhsa_system_sgpr_workgroup_id_z 0
		.amdhsa_system_sgpr_workgroup_info 0
		.amdhsa_system_vgpr_workitem_id 0
		.amdhsa_next_free_vgpr 89
		.amdhsa_next_free_sgpr 16
		.amdhsa_reserve_vcc 1
		.amdhsa_reserve_flat_scratch 0
		.amdhsa_float_round_mode_32 0
		.amdhsa_float_round_mode_16_64 0
		.amdhsa_float_denorm_mode_32 3
		.amdhsa_float_denorm_mode_16_64 3
		.amdhsa_dx10_clamp 1
		.amdhsa_ieee_mode 1
		.amdhsa_fp16_overflow 0
		.amdhsa_workgroup_processor_mode 1
		.amdhsa_memory_ordered 1
		.amdhsa_forward_progress 0
		.amdhsa_shared_vgpr_count 0
		.amdhsa_exception_fp_ieee_invalid_op 0
		.amdhsa_exception_fp_denorm_src 0
		.amdhsa_exception_fp_ieee_div_zero 0
		.amdhsa_exception_fp_ieee_overflow 0
		.amdhsa_exception_fp_ieee_underflow 0
		.amdhsa_exception_fp_ieee_inexact 0
		.amdhsa_exception_int_div_zero 0
	.end_amdhsa_kernel
	.text
.Lfunc_end0:
	.size	bluestein_single_back_len980_dim1_sp_op_CI_CI, .Lfunc_end0-bluestein_single_back_len980_dim1_sp_op_CI_CI
                                        ; -- End function
	.section	.AMDGPU.csdata,"",@progbits
; Kernel info:
; codeLenInByte = 7148
; NumSgprs: 18
; NumVgprs: 89
; ScratchSize: 0
; MemoryBound: 0
; FloatMode: 240
; IeeeMode: 1
; LDSByteSize: 7840 bytes/workgroup (compile time only)
; SGPRBlocks: 2
; VGPRBlocks: 11
; NumSGPRsForWavesPerEU: 18
; NumVGPRsForWavesPerEU: 89
; Occupancy: 10
; WaveLimiterHint : 1
; COMPUTE_PGM_RSRC2:SCRATCH_EN: 0
; COMPUTE_PGM_RSRC2:USER_SGPR: 6
; COMPUTE_PGM_RSRC2:TRAP_HANDLER: 0
; COMPUTE_PGM_RSRC2:TGID_X_EN: 1
; COMPUTE_PGM_RSRC2:TGID_Y_EN: 0
; COMPUTE_PGM_RSRC2:TGID_Z_EN: 0
; COMPUTE_PGM_RSRC2:TIDIG_COMP_CNT: 0
	.text
	.p2alignl 6, 3214868480
	.fill 48, 4, 3214868480
	.type	__hip_cuid_3e1a59a713373ac6,@object ; @__hip_cuid_3e1a59a713373ac6
	.section	.bss,"aw",@nobits
	.globl	__hip_cuid_3e1a59a713373ac6
__hip_cuid_3e1a59a713373ac6:
	.byte	0                               ; 0x0
	.size	__hip_cuid_3e1a59a713373ac6, 1

	.ident	"AMD clang version 19.0.0git (https://github.com/RadeonOpenCompute/llvm-project roc-6.4.0 25133 c7fe45cf4b819c5991fe208aaa96edf142730f1d)"
	.section	".note.GNU-stack","",@progbits
	.addrsig
	.addrsig_sym __hip_cuid_3e1a59a713373ac6
	.amdgpu_metadata
---
amdhsa.kernels:
  - .args:
      - .actual_access:  read_only
        .address_space:  global
        .offset:         0
        .size:           8
        .value_kind:     global_buffer
      - .actual_access:  read_only
        .address_space:  global
        .offset:         8
        .size:           8
        .value_kind:     global_buffer
      - .actual_access:  read_only
        .address_space:  global
        .offset:         16
        .size:           8
        .value_kind:     global_buffer
      - .actual_access:  read_only
        .address_space:  global
        .offset:         24
        .size:           8
        .value_kind:     global_buffer
      - .actual_access:  read_only
        .address_space:  global
        .offset:         32
        .size:           8
        .value_kind:     global_buffer
      - .offset:         40
        .size:           8
        .value_kind:     by_value
      - .address_space:  global
        .offset:         48
        .size:           8
        .value_kind:     global_buffer
      - .address_space:  global
        .offset:         56
        .size:           8
        .value_kind:     global_buffer
      - .address_space:  global
        .offset:         64
        .size:           8
        .value_kind:     global_buffer
      - .address_space:  global
        .offset:         72
        .size:           8
        .value_kind:     global_buffer
      - .offset:         80
        .size:           4
        .value_kind:     by_value
      - .address_space:  global
        .offset:         88
        .size:           8
        .value_kind:     global_buffer
      - .address_space:  global
        .offset:         96
        .size:           8
        .value_kind:     global_buffer
    .group_segment_fixed_size: 7840
    .kernarg_segment_align: 8
    .kernarg_segment_size: 104
    .language:       OpenCL C
    .language_version:
      - 2
      - 0
    .max_flat_workgroup_size: 196
    .name:           bluestein_single_back_len980_dim1_sp_op_CI_CI
    .private_segment_fixed_size: 0
    .sgpr_count:     18
    .sgpr_spill_count: 0
    .symbol:         bluestein_single_back_len980_dim1_sp_op_CI_CI.kd
    .uniform_work_group_size: 1
    .uses_dynamic_stack: false
    .vgpr_count:     89
    .vgpr_spill_count: 0
    .wavefront_size: 32
    .workgroup_processor_mode: 1
amdhsa.target:   amdgcn-amd-amdhsa--gfx1030
amdhsa.version:
  - 1
  - 2
...

	.end_amdgpu_metadata
